;; amdgpu-corpus repo=ROCm/rocFFT kind=compiled arch=gfx1100 opt=O3
	.text
	.amdgcn_target "amdgcn-amd-amdhsa--gfx1100"
	.amdhsa_code_object_version 6
	.protected	fft_rtc_back_len1500_factors_5_10_10_3_wgs_150_tpt_150_halfLds_dp_ip_CI_unitstride_sbrr_dirReg ; -- Begin function fft_rtc_back_len1500_factors_5_10_10_3_wgs_150_tpt_150_halfLds_dp_ip_CI_unitstride_sbrr_dirReg
	.globl	fft_rtc_back_len1500_factors_5_10_10_3_wgs_150_tpt_150_halfLds_dp_ip_CI_unitstride_sbrr_dirReg
	.p2align	8
	.type	fft_rtc_back_len1500_factors_5_10_10_3_wgs_150_tpt_150_halfLds_dp_ip_CI_unitstride_sbrr_dirReg,@function
fft_rtc_back_len1500_factors_5_10_10_3_wgs_150_tpt_150_halfLds_dp_ip_CI_unitstride_sbrr_dirReg: ; @fft_rtc_back_len1500_factors_5_10_10_3_wgs_150_tpt_150_halfLds_dp_ip_CI_unitstride_sbrr_dirReg
; %bb.0:
	s_clause 0x2
	s_load_b128 s[4:7], s[0:1], 0x0
	s_load_b64 s[8:9], s[0:1], 0x50
	s_load_b64 s[10:11], s[0:1], 0x18
	v_mul_u32_u24_e32 v1, 0x1b5, v0
	v_mov_b32_e32 v3, 0
	v_mov_b32_e32 v4, 0
	s_delay_alu instid0(VALU_DEP_3) | instskip(SKIP_1) | instid1(VALU_DEP_1)
	v_lshrrev_b32_e32 v2, 16, v1
	v_mov_b32_e32 v1, 0
	v_dual_mov_b32 v6, v1 :: v_dual_add_nc_u32 v5, s15, v2
	s_waitcnt lgkmcnt(0)
	v_cmp_lt_u64_e64 s2, s[6:7], 2
	s_delay_alu instid0(VALU_DEP_1)
	s_and_b32 vcc_lo, exec_lo, s2
	s_cbranch_vccnz .LBB0_8
; %bb.1:
	s_load_b64 s[2:3], s[0:1], 0x10
	v_mov_b32_e32 v3, 0
	s_add_u32 s12, s10, 8
	v_mov_b32_e32 v4, 0
	s_addc_u32 s13, s11, 0
	s_mov_b64 s[16:17], 1
	s_waitcnt lgkmcnt(0)
	s_add_u32 s14, s2, 8
	s_addc_u32 s15, s3, 0
.LBB0_2:                                ; =>This Inner Loop Header: Depth=1
	s_load_b64 s[18:19], s[14:15], 0x0
                                        ; implicit-def: $vgpr7_vgpr8
	s_mov_b32 s2, exec_lo
	s_waitcnt lgkmcnt(0)
	v_or_b32_e32 v2, s19, v6
	s_delay_alu instid0(VALU_DEP_1)
	v_cmpx_ne_u64_e32 0, v[1:2]
	s_xor_b32 s3, exec_lo, s2
	s_cbranch_execz .LBB0_4
; %bb.3:                                ;   in Loop: Header=BB0_2 Depth=1
	v_cvt_f32_u32_e32 v2, s18
	v_cvt_f32_u32_e32 v7, s19
	s_sub_u32 s2, 0, s18
	s_subb_u32 s20, 0, s19
	s_delay_alu instid0(VALU_DEP_1) | instskip(NEXT) | instid1(VALU_DEP_1)
	v_fmac_f32_e32 v2, 0x4f800000, v7
	v_rcp_f32_e32 v2, v2
	s_waitcnt_depctr 0xfff
	v_mul_f32_e32 v2, 0x5f7ffffc, v2
	s_delay_alu instid0(VALU_DEP_1) | instskip(NEXT) | instid1(VALU_DEP_1)
	v_mul_f32_e32 v7, 0x2f800000, v2
	v_trunc_f32_e32 v7, v7
	s_delay_alu instid0(VALU_DEP_1) | instskip(SKIP_1) | instid1(VALU_DEP_2)
	v_fmac_f32_e32 v2, 0xcf800000, v7
	v_cvt_u32_f32_e32 v7, v7
	v_cvt_u32_f32_e32 v2, v2
	s_delay_alu instid0(VALU_DEP_2) | instskip(NEXT) | instid1(VALU_DEP_2)
	v_mul_lo_u32 v8, s2, v7
	v_mul_hi_u32 v9, s2, v2
	v_mul_lo_u32 v10, s20, v2
	s_delay_alu instid0(VALU_DEP_2) | instskip(SKIP_1) | instid1(VALU_DEP_2)
	v_add_nc_u32_e32 v8, v9, v8
	v_mul_lo_u32 v9, s2, v2
	v_add_nc_u32_e32 v8, v8, v10
	s_delay_alu instid0(VALU_DEP_2) | instskip(NEXT) | instid1(VALU_DEP_2)
	v_mul_hi_u32 v10, v2, v9
	v_mul_lo_u32 v11, v2, v8
	v_mul_hi_u32 v12, v2, v8
	v_mul_hi_u32 v13, v7, v9
	v_mul_lo_u32 v9, v7, v9
	v_mul_hi_u32 v14, v7, v8
	v_mul_lo_u32 v8, v7, v8
	v_add_co_u32 v10, vcc_lo, v10, v11
	v_add_co_ci_u32_e32 v11, vcc_lo, 0, v12, vcc_lo
	s_delay_alu instid0(VALU_DEP_2) | instskip(NEXT) | instid1(VALU_DEP_2)
	v_add_co_u32 v9, vcc_lo, v10, v9
	v_add_co_ci_u32_e32 v9, vcc_lo, v11, v13, vcc_lo
	v_add_co_ci_u32_e32 v10, vcc_lo, 0, v14, vcc_lo
	s_delay_alu instid0(VALU_DEP_2) | instskip(NEXT) | instid1(VALU_DEP_2)
	v_add_co_u32 v8, vcc_lo, v9, v8
	v_add_co_ci_u32_e32 v9, vcc_lo, 0, v10, vcc_lo
	s_delay_alu instid0(VALU_DEP_2) | instskip(NEXT) | instid1(VALU_DEP_2)
	v_add_co_u32 v2, vcc_lo, v2, v8
	v_add_co_ci_u32_e32 v7, vcc_lo, v7, v9, vcc_lo
	s_delay_alu instid0(VALU_DEP_2) | instskip(SKIP_1) | instid1(VALU_DEP_3)
	v_mul_hi_u32 v8, s2, v2
	v_mul_lo_u32 v10, s20, v2
	v_mul_lo_u32 v9, s2, v7
	s_delay_alu instid0(VALU_DEP_1) | instskip(SKIP_1) | instid1(VALU_DEP_2)
	v_add_nc_u32_e32 v8, v8, v9
	v_mul_lo_u32 v9, s2, v2
	v_add_nc_u32_e32 v8, v8, v10
	s_delay_alu instid0(VALU_DEP_2) | instskip(NEXT) | instid1(VALU_DEP_2)
	v_mul_hi_u32 v10, v2, v9
	v_mul_lo_u32 v11, v2, v8
	v_mul_hi_u32 v12, v2, v8
	v_mul_hi_u32 v13, v7, v9
	v_mul_lo_u32 v9, v7, v9
	v_mul_hi_u32 v14, v7, v8
	v_mul_lo_u32 v8, v7, v8
	v_add_co_u32 v10, vcc_lo, v10, v11
	v_add_co_ci_u32_e32 v11, vcc_lo, 0, v12, vcc_lo
	s_delay_alu instid0(VALU_DEP_2) | instskip(NEXT) | instid1(VALU_DEP_2)
	v_add_co_u32 v9, vcc_lo, v10, v9
	v_add_co_ci_u32_e32 v9, vcc_lo, v11, v13, vcc_lo
	v_add_co_ci_u32_e32 v10, vcc_lo, 0, v14, vcc_lo
	s_delay_alu instid0(VALU_DEP_2) | instskip(NEXT) | instid1(VALU_DEP_2)
	v_add_co_u32 v8, vcc_lo, v9, v8
	v_add_co_ci_u32_e32 v9, vcc_lo, 0, v10, vcc_lo
	s_delay_alu instid0(VALU_DEP_2) | instskip(NEXT) | instid1(VALU_DEP_2)
	v_add_co_u32 v2, vcc_lo, v2, v8
	v_add_co_ci_u32_e32 v13, vcc_lo, v7, v9, vcc_lo
	s_delay_alu instid0(VALU_DEP_2) | instskip(SKIP_1) | instid1(VALU_DEP_3)
	v_mul_hi_u32 v14, v5, v2
	v_mad_u64_u32 v[9:10], null, v6, v2, 0
	v_mad_u64_u32 v[7:8], null, v5, v13, 0
	;; [unrolled: 1-line block ×3, first 2 shown]
	s_delay_alu instid0(VALU_DEP_2) | instskip(NEXT) | instid1(VALU_DEP_3)
	v_add_co_u32 v2, vcc_lo, v14, v7
	v_add_co_ci_u32_e32 v7, vcc_lo, 0, v8, vcc_lo
	s_delay_alu instid0(VALU_DEP_2) | instskip(NEXT) | instid1(VALU_DEP_2)
	v_add_co_u32 v2, vcc_lo, v2, v9
	v_add_co_ci_u32_e32 v2, vcc_lo, v7, v10, vcc_lo
	v_add_co_ci_u32_e32 v7, vcc_lo, 0, v12, vcc_lo
	s_delay_alu instid0(VALU_DEP_2) | instskip(NEXT) | instid1(VALU_DEP_2)
	v_add_co_u32 v2, vcc_lo, v2, v11
	v_add_co_ci_u32_e32 v9, vcc_lo, 0, v7, vcc_lo
	s_delay_alu instid0(VALU_DEP_2) | instskip(SKIP_1) | instid1(VALU_DEP_3)
	v_mul_lo_u32 v10, s19, v2
	v_mad_u64_u32 v[7:8], null, s18, v2, 0
	v_mul_lo_u32 v11, s18, v9
	s_delay_alu instid0(VALU_DEP_2) | instskip(NEXT) | instid1(VALU_DEP_2)
	v_sub_co_u32 v7, vcc_lo, v5, v7
	v_add3_u32 v8, v8, v11, v10
	s_delay_alu instid0(VALU_DEP_1) | instskip(NEXT) | instid1(VALU_DEP_1)
	v_sub_nc_u32_e32 v10, v6, v8
	v_subrev_co_ci_u32_e64 v10, s2, s19, v10, vcc_lo
	v_add_co_u32 v11, s2, v2, 2
	s_delay_alu instid0(VALU_DEP_1) | instskip(SKIP_3) | instid1(VALU_DEP_3)
	v_add_co_ci_u32_e64 v12, s2, 0, v9, s2
	v_sub_co_u32 v13, s2, v7, s18
	v_sub_co_ci_u32_e32 v8, vcc_lo, v6, v8, vcc_lo
	v_subrev_co_ci_u32_e64 v10, s2, 0, v10, s2
	v_cmp_le_u32_e32 vcc_lo, s18, v13
	s_delay_alu instid0(VALU_DEP_3) | instskip(SKIP_1) | instid1(VALU_DEP_4)
	v_cmp_eq_u32_e64 s2, s19, v8
	v_cndmask_b32_e64 v13, 0, -1, vcc_lo
	v_cmp_le_u32_e32 vcc_lo, s19, v10
	v_cndmask_b32_e64 v14, 0, -1, vcc_lo
	v_cmp_le_u32_e32 vcc_lo, s18, v7
	;; [unrolled: 2-line block ×3, first 2 shown]
	v_cndmask_b32_e64 v15, 0, -1, vcc_lo
	v_cmp_eq_u32_e32 vcc_lo, s19, v10
	s_delay_alu instid0(VALU_DEP_2) | instskip(SKIP_3) | instid1(VALU_DEP_3)
	v_cndmask_b32_e64 v7, v15, v7, s2
	v_cndmask_b32_e32 v10, v14, v13, vcc_lo
	v_add_co_u32 v13, vcc_lo, v2, 1
	v_add_co_ci_u32_e32 v14, vcc_lo, 0, v9, vcc_lo
	v_cmp_ne_u32_e32 vcc_lo, 0, v10
	s_delay_alu instid0(VALU_DEP_2) | instskip(NEXT) | instid1(VALU_DEP_4)
	v_cndmask_b32_e32 v8, v14, v12, vcc_lo
	v_cndmask_b32_e32 v10, v13, v11, vcc_lo
	v_cmp_ne_u32_e32 vcc_lo, 0, v7
	s_delay_alu instid0(VALU_DEP_2)
	v_dual_cndmask_b32 v7, v2, v10 :: v_dual_cndmask_b32 v8, v9, v8
.LBB0_4:                                ;   in Loop: Header=BB0_2 Depth=1
	s_and_not1_saveexec_b32 s2, s3
	s_cbranch_execz .LBB0_6
; %bb.5:                                ;   in Loop: Header=BB0_2 Depth=1
	v_cvt_f32_u32_e32 v2, s18
	s_sub_i32 s3, 0, s18
	s_delay_alu instid0(VALU_DEP_1) | instskip(SKIP_2) | instid1(VALU_DEP_1)
	v_rcp_iflag_f32_e32 v2, v2
	s_waitcnt_depctr 0xfff
	v_mul_f32_e32 v2, 0x4f7ffffe, v2
	v_cvt_u32_f32_e32 v2, v2
	s_delay_alu instid0(VALU_DEP_1) | instskip(NEXT) | instid1(VALU_DEP_1)
	v_mul_lo_u32 v7, s3, v2
	v_mul_hi_u32 v7, v2, v7
	s_delay_alu instid0(VALU_DEP_1) | instskip(NEXT) | instid1(VALU_DEP_1)
	v_add_nc_u32_e32 v2, v2, v7
	v_mul_hi_u32 v2, v5, v2
	s_delay_alu instid0(VALU_DEP_1) | instskip(SKIP_1) | instid1(VALU_DEP_2)
	v_mul_lo_u32 v7, v2, s18
	v_add_nc_u32_e32 v8, 1, v2
	v_sub_nc_u32_e32 v7, v5, v7
	s_delay_alu instid0(VALU_DEP_1) | instskip(SKIP_1) | instid1(VALU_DEP_2)
	v_subrev_nc_u32_e32 v9, s18, v7
	v_cmp_le_u32_e32 vcc_lo, s18, v7
	v_dual_cndmask_b32 v7, v7, v9 :: v_dual_cndmask_b32 v2, v2, v8
	s_delay_alu instid0(VALU_DEP_1) | instskip(NEXT) | instid1(VALU_DEP_2)
	v_cmp_le_u32_e32 vcc_lo, s18, v7
	v_add_nc_u32_e32 v8, 1, v2
	s_delay_alu instid0(VALU_DEP_1)
	v_dual_cndmask_b32 v7, v2, v8 :: v_dual_mov_b32 v8, v1
.LBB0_6:                                ;   in Loop: Header=BB0_2 Depth=1
	s_or_b32 exec_lo, exec_lo, s2
	s_load_b64 s[2:3], s[12:13], 0x0
	s_delay_alu instid0(VALU_DEP_1) | instskip(NEXT) | instid1(VALU_DEP_2)
	v_mul_lo_u32 v2, v8, s18
	v_mul_lo_u32 v11, v7, s19
	v_mad_u64_u32 v[9:10], null, v7, s18, 0
	s_add_u32 s16, s16, 1
	s_addc_u32 s17, s17, 0
	s_add_u32 s12, s12, 8
	s_addc_u32 s13, s13, 0
	;; [unrolled: 2-line block ×3, first 2 shown]
	s_delay_alu instid0(VALU_DEP_1) | instskip(SKIP_1) | instid1(VALU_DEP_2)
	v_add3_u32 v2, v10, v11, v2
	v_sub_co_u32 v9, vcc_lo, v5, v9
	v_sub_co_ci_u32_e32 v2, vcc_lo, v6, v2, vcc_lo
	s_waitcnt lgkmcnt(0)
	s_delay_alu instid0(VALU_DEP_2) | instskip(NEXT) | instid1(VALU_DEP_2)
	v_mul_lo_u32 v10, s3, v9
	v_mul_lo_u32 v2, s2, v2
	v_mad_u64_u32 v[5:6], null, s2, v9, v[3:4]
	v_cmp_ge_u64_e64 s2, s[16:17], s[6:7]
	s_delay_alu instid0(VALU_DEP_1) | instskip(NEXT) | instid1(VALU_DEP_2)
	s_and_b32 vcc_lo, exec_lo, s2
	v_add3_u32 v4, v10, v6, v2
	s_delay_alu instid0(VALU_DEP_3)
	v_mov_b32_e32 v3, v5
	s_cbranch_vccnz .LBB0_9
; %bb.7:                                ;   in Loop: Header=BB0_2 Depth=1
	v_dual_mov_b32 v5, v7 :: v_dual_mov_b32 v6, v8
	s_branch .LBB0_2
.LBB0_8:
	v_dual_mov_b32 v8, v6 :: v_dual_mov_b32 v7, v5
.LBB0_9:
	s_lshl_b64 s[2:3], s[6:7], 3
                                        ; implicit-def: $vgpr10_vgpr11
                                        ; implicit-def: $vgpr34_vgpr35
                                        ; implicit-def: $vgpr26_vgpr27
                                        ; implicit-def: $vgpr14_vgpr15
                                        ; implicit-def: $vgpr22_vgpr23
                                        ; implicit-def: $vgpr38_vgpr39
                                        ; implicit-def: $vgpr30_vgpr31
                                        ; implicit-def: $vgpr18_vgpr19
	s_delay_alu instid0(SALU_CYCLE_1)
	s_add_u32 s2, s10, s2
	s_addc_u32 s3, s11, s3
	s_load_b64 s[2:3], s[2:3], 0x0
	s_load_b64 s[0:1], s[0:1], 0x20
	s_waitcnt lgkmcnt(0)
	v_mul_lo_u32 v5, s2, v8
	v_mul_lo_u32 v6, s3, v7
	v_mad_u64_u32 v[1:2], null, s2, v7, v[3:4]
	v_mul_hi_u32 v3, 0x1b4e81c, v0
	v_cmp_gt_u64_e32 vcc_lo, s[0:1], v[7:8]
	s_delay_alu instid0(VALU_DEP_3) | instskip(NEXT) | instid1(VALU_DEP_3)
	v_add3_u32 v2, v6, v2, v5
                                        ; implicit-def: $vgpr6_vgpr7
	v_mul_u32_u24_e32 v3, 0x96, v3
	s_delay_alu instid0(VALU_DEP_2) | instskip(NEXT) | instid1(VALU_DEP_2)
	v_lshlrev_b64 v[42:43], 4, v[1:2]
	v_sub_nc_u32_e32 v40, v0, v3
                                        ; implicit-def: $vgpr2_vgpr3
	s_and_saveexec_b32 s1, vcc_lo
	s_cbranch_execz .LBB0_11
; %bb.10:
	v_mov_b32_e32 v41, 0
	s_delay_alu instid0(VALU_DEP_3) | instskip(NEXT) | instid1(VALU_DEP_1)
	v_add_co_u32 v2, s0, s8, v42
	v_add_co_ci_u32_e64 v3, s0, s9, v43, s0
	s_delay_alu instid0(VALU_DEP_3) | instskip(NEXT) | instid1(VALU_DEP_1)
	v_lshlrev_b64 v[0:1], 4, v[40:41]
	v_add_co_u32 v0, s0, v2, v0
	s_delay_alu instid0(VALU_DEP_1) | instskip(NEXT) | instid1(VALU_DEP_2)
	v_add_co_ci_u32_e64 v1, s0, v3, v1, s0
	v_add_co_u32 v2, s0, 0x1000, v0
	s_delay_alu instid0(VALU_DEP_1) | instskip(SKIP_1) | instid1(VALU_DEP_1)
	v_add_co_ci_u32_e64 v3, s0, 0, v1, s0
	v_add_co_u32 v4, s0, 0x2000, v0
	v_add_co_ci_u32_e64 v5, s0, 0, v1, s0
	v_add_co_u32 v6, s0, 0x3000, v0
	s_delay_alu instid0(VALU_DEP_1) | instskip(SKIP_1) | instid1(VALU_DEP_1)
	v_add_co_ci_u32_e64 v7, s0, 0, v1, s0
	v_add_co_u32 v44, s0, 0x4000, v0
	v_add_co_ci_u32_e64 v45, s0, 0, v1, s0
	s_clause 0x3
	global_load_b128 v[16:19], v[0:1], off
	global_load_b128 v[12:15], v[0:1], off offset:2400
	global_load_b128 v[28:31], v[2:3], off offset:704
	global_load_b128 v[24:27], v[2:3], off offset:3104
	v_add_co_u32 v0, s0, 0x5000, v0
	s_delay_alu instid0(VALU_DEP_1)
	v_add_co_ci_u32_e64 v1, s0, 0, v1, s0
	s_clause 0x5
	global_load_b128 v[36:39], v[4:5], off offset:1408
	global_load_b128 v[32:35], v[4:5], off offset:3808
	;; [unrolled: 1-line block ×6, first 2 shown]
.LBB0_11:
	s_or_b32 exec_lo, exec_lo, s1
	s_waitcnt vmcnt(3)
	v_add_f64 v[44:45], v[20:21], v[36:37]
	s_waitcnt vmcnt(1)
	v_add_f64 v[46:47], v[4:5], v[28:29]
	;; [unrolled: 2-line block ×3, first 2 shown]
	v_add_f64 v[50:51], v[8:9], v[32:33]
	v_add_f64 v[52:53], v[28:29], v[16:17]
	;; [unrolled: 1-line block ×4, first 2 shown]
	v_add_f64 v[60:61], v[30:31], -v[6:7]
	v_add_f64 v[62:63], v[38:39], -v[22:23]
	v_add_f64 v[64:65], v[10:11], v[34:35]
	v_add_f64 v[66:67], v[2:3], v[26:27]
	s_mov_b32 s6, 0x134454ff
	s_mov_b32 s7, 0xbfee6f0e
	;; [unrolled: 1-line block ×4, first 2 shown]
	v_add_f64 v[54:55], v[30:31], v[18:19]
	v_add_f64 v[68:69], v[28:29], -v[36:37]
	v_add_f64 v[70:71], v[4:5], -v[20:21]
	;; [unrolled: 1-line block ×5, first 2 shown]
	v_add_f64 v[80:81], v[24:25], v[12:13]
	v_add_f64 v[82:83], v[26:27], -v[2:3]
	v_add_f64 v[90:91], v[32:33], -v[24:25]
	v_add_f64 v[84:85], v[26:27], v[14:15]
	v_add_f64 v[74:75], v[20:21], -v[4:5]
	v_add_f64 v[86:87], v[24:25], -v[32:33]
	;; [unrolled: 1-line block ×5, first 2 shown]
	s_mov_b32 s12, 0x4755a5e
	s_mov_b32 s13, 0xbfe2cf23
	;; [unrolled: 1-line block ×4, first 2 shown]
	v_add_f64 v[78:79], v[30:31], -v[38:39]
	v_add_f64 v[30:31], v[38:39], -v[30:31]
	s_mov_b32 s14, 0x372fe950
	s_mov_b32 s15, 0x3fd3c6ef
	v_fma_f64 v[44:45], v[44:45], -0.5, v[16:17]
	v_fma_f64 v[16:17], v[46:47], -0.5, v[16:17]
	v_add_f64 v[46:47], v[34:35], -v[10:11]
	v_fma_f64 v[48:49], v[48:49], -0.5, v[12:13]
	v_fma_f64 v[12:13], v[50:51], -0.5, v[12:13]
	v_add_f64 v[36:37], v[36:37], v[52:53]
	v_add_f64 v[50:51], v[8:9], -v[0:1]
	v_fma_f64 v[52:53], v[56:57], -0.5, v[18:19]
	v_fma_f64 v[18:19], v[58:59], -0.5, v[18:19]
	;; [unrolled: 1-line block ×4, first 2 shown]
	s_mov_b32 s16, 0x9b97f4a8
	s_mov_b32 s17, 0x3fe9e377
	;; [unrolled: 1-line block ×4, first 2 shown]
	v_add_f64 v[38:39], v[38:39], v[54:55]
	v_add_f64 v[54:55], v[26:27], -v[34:35]
	v_add_f64 v[68:69], v[70:71], v[68:69]
	v_add_f64 v[26:27], v[34:35], -v[26:27]
	s_mov_b32 s19, 0xbfe9e377
	s_mov_b32 s18, s16
	v_add_f64 v[32:33], v[32:33], v[80:81]
	v_add_f64 v[80:81], v[6:7], -v[22:23]
	v_add_f64 v[34:35], v[34:35], v[84:85]
	v_add_f64 v[84:85], v[22:23], -v[6:7]
	v_add_f64 v[72:73], v[74:75], v[72:73]
	v_add_f64 v[74:75], v[2:3], -v[10:11]
	v_add_f64 v[86:87], v[88:89], v[86:87]
	v_add_f64 v[88:89], v[10:11], -v[2:3]
	v_fma_f64 v[56:57], v[60:61], s[6:7], v[44:45]
	v_fma_f64 v[44:45], v[60:61], s[2:3], v[44:45]
	;; [unrolled: 1-line block ×8, first 2 shown]
	v_add_f64 v[50:51], v[50:51], v[90:91]
	v_fma_f64 v[90:91], v[28:29], s[2:3], v[52:53]
	v_fma_f64 v[52:53], v[28:29], s[6:7], v[52:53]
	v_add_f64 v[20:21], v[20:21], v[36:37]
	v_add_f64 v[22:23], v[22:23], v[38:39]
	;; [unrolled: 1-line block ×5, first 2 shown]
	v_and_b32_e32 v10, 0xff, v40
	v_add_f64 v[54:55], v[74:75], v[54:55]
	v_mad_u32_u24 v34, v40, 40, 0
	v_add_f64 v[26:27], v[88:89], v[26:27]
	v_lshlrev_b32_e32 v35, 5, v40
	v_mul_lo_u16 v8, 0xcd, v10
	v_mul_lo_u16 v10, v10, 41
	s_delay_alu instid0(VALU_DEP_2)
	v_lshrrev_b16 v9, 10, v8
	v_fma_f64 v[56:57], v[62:63], s[12:13], v[56:57]
	v_fma_f64 v[44:45], v[62:63], s[10:11], v[44:45]
	;; [unrolled: 1-line block ×14, first 2 shown]
	v_add_f64 v[46:47], v[80:81], v[78:79]
	v_fma_f64 v[70:71], v[76:77], s[10:11], v[90:91]
	v_add_f64 v[4:5], v[4:5], v[20:21]
	v_add_f64 v[20:21], v[0:1], v[32:33]
	v_mul_lo_u16 v0, v9, 5
	s_delay_alu instid0(VALU_DEP_1)
	v_sub_nc_u16 v0, v40, v0
	v_fma_f64 v[32:33], v[68:69], s[14:15], v[56:57]
	v_fma_f64 v[44:45], v[68:69], s[14:15], v[44:45]
	;; [unrolled: 1-line block ×13, first 2 shown]
	v_add_f64 v[50:51], v[6:7], v[22:23]
	v_fma_f64 v[58:59], v[86:87], s[14:15], v[36:37]
	v_fma_f64 v[66:67], v[46:47], s[14:15], v[70:71]
	v_add_f64 v[37:38], v[2:3], v[38:39]
	v_fma_f64 v[11:12], v[86:87], s[14:15], v[12:13]
	v_and_b32_e32 v3, 0xff, v0
	v_sub_nc_u32_e32 v36, v34, v35
	v_add_nc_u32_e32 v39, 0x1780, v34
	v_sub_nc_u32_e32 v35, 0, v35
	s_delay_alu instid0(VALU_DEP_4) | instskip(NEXT) | instid1(VALU_DEP_4)
	v_mul_u32_u24_e32 v6, 9, v3
	v_add_nc_u32_e32 v0, 0x800, v36
	v_add_nc_u32_e32 v2, 0x1000, v36
	;; [unrolled: 1-line block ×4, first 2 shown]
	v_lshlrev_b32_e32 v41, 4, v6
	v_lshlrev_b32_e32 v3, 3, v3
	v_fma_f64 v[62:63], v[30:31], s[14:15], v[62:63]
	v_fma_f64 v[30:31], v[30:31], s[14:15], v[18:19]
	;; [unrolled: 1-line block ×7, first 2 shown]
	v_add_nc_u32_e32 v27, 0x1770, v34
	ds_store_2addr_b64 v34, v[4:5], v[32:33] offset1:1
	ds_store_2addr_b64 v34, v[56:57], v[16:17] offset0:2 offset1:3
	ds_store_2addr_b64 v27, v[20:21], v[58:59] offset1:1
	ds_store_2addr_b64 v39, v[64:65], v[48:49] offset1:1
	ds_store_b64 v34, v[44:45] offset:32
	ds_store_b64 v34, v[11:12] offset:6032
	s_waitcnt lgkmcnt(0)
	s_barrier
	buffer_gl0_inv
	ds_load_2addr_b64 v[4:7], v36 offset1:150
	ds_load_2addr_b64 v[11:14], v0 offset0:44 offset1:194
	ds_load_2addr_b64 v[15:18], v2 offset0:88 offset1:238
	;; [unrolled: 1-line block ×4, first 2 shown]
	s_waitcnt lgkmcnt(0)
	s_barrier
	buffer_gl0_inv
	ds_store_2addr_b64 v34, v[50:51], v[66:67] offset1:1
	ds_store_2addr_b64 v34, v[62:63], v[30:31] offset0:2 offset1:3
	ds_store_2addr_b64 v27, v[37:38], v[28:29] offset1:1
	ds_store_2addr_b64 v39, v[60:61], v[68:69] offset1:1
	ds_store_b64 v34, v[46:47] offset:32
	ds_store_b64 v34, v[52:53] offset:6032
	s_waitcnt lgkmcnt(0)
	s_barrier
	buffer_gl0_inv
	s_clause 0x8
	global_load_b128 v[27:30], v41, s[4:5] offset:16
	global_load_b128 v[44:47], v41, s[4:5] offset:32
	;; [unrolled: 1-line block ×7, first 2 shown]
	global_load_b128 v[68:71], v41, s[4:5]
	global_load_b128 v[72:75], v41, s[4:5] offset:112
	ds_load_2addr_b64 v[76:79], v0 offset0:44 offset1:194
	v_lshrrev_b16 v41, 11, v10
	s_delay_alu instid0(VALU_DEP_1) | instskip(NEXT) | instid1(VALU_DEP_1)
	v_mul_lo_u16 v10, v41, 50
	v_sub_nc_u16 v10, v40, v10
	s_waitcnt vmcnt(8) lgkmcnt(0)
	v_mul_f64 v[37:38], v[76:77], v[29:30]
	v_mul_f64 v[88:89], v[11:12], v[29:30]
	s_waitcnt vmcnt(7)
	v_mul_f64 v[90:91], v[78:79], v[46:47]
	v_mul_f64 v[46:47], v[13:14], v[46:47]
	ds_load_2addr_b64 v[29:32], v2 offset0:88 offset1:238
	ds_load_2addr_b64 v[80:83], v8 offset0:4 offset1:154
	;; [unrolled: 1-line block ×3, first 2 shown]
	v_fma_f64 v[37:38], v[11:12], v[27:28], v[37:38]
	s_waitcnt vmcnt(6) lgkmcnt(2)
	v_mul_f64 v[11:12], v[31:32], v[50:51]
	v_fma_f64 v[27:28], v[76:77], v[27:28], -v[88:89]
	v_mul_f64 v[50:51], v[17:18], v[50:51]
	v_fma_f64 v[76:77], v[13:14], v[44:45], v[90:91]
	s_waitcnt vmcnt(5) lgkmcnt(1)
	v_mul_f64 v[88:89], v[82:83], v[54:55]
	v_mul_f64 v[54:55], v[21:22], v[54:55]
	v_fma_f64 v[44:45], v[78:79], v[44:45], -v[46:47]
	s_waitcnt vmcnt(4)
	v_mul_f64 v[46:47], v[25:26], v[58:59]
	s_waitcnt vmcnt(3)
	v_mul_f64 v[78:79], v[29:30], v[62:63]
	s_waitcnt lgkmcnt(0)
	v_mul_f64 v[58:59], v[86:87], v[58:59]
	v_fma_f64 v[17:18], v[17:18], v[48:49], v[11:12]
	ds_load_2addr_b64 v[11:14], v36 offset1:150
	v_fma_f64 v[31:32], v[31:32], v[48:49], -v[50:51]
	s_waitcnt vmcnt(2)
	v_mul_f64 v[48:49], v[80:81], v[66:67]
	v_fma_f64 v[21:22], v[21:22], v[52:53], v[88:89]
	v_fma_f64 v[50:51], v[82:83], v[52:53], -v[54:55]
	s_waitcnt vmcnt(1)
	v_mul_f64 v[52:53], v[6:7], v[70:71]
	v_fma_f64 v[46:47], v[86:87], v[56:57], -v[46:47]
	s_waitcnt vmcnt(0)
	v_mul_f64 v[54:55], v[84:85], v[74:75]
	v_fma_f64 v[78:79], v[15:16], v[60:61], v[78:79]
	v_mul_f64 v[15:16], v[15:16], v[62:63]
	v_mul_f64 v[62:63], v[19:20], v[66:67]
	v_fma_f64 v[25:26], v[25:26], v[56:57], v[58:59]
	v_mul_f64 v[56:57], v[23:24], v[74:75]
	s_waitcnt lgkmcnt(0)
	s_barrier
	buffer_gl0_inv
	v_mul_f64 v[58:59], v[13:14], v[70:71]
	v_add_f64 v[82:83], v[76:77], -v[17:18]
	v_add_f64 v[86:87], v[31:32], -v[44:45]
	v_fma_f64 v[19:20], v[19:20], v[64:65], v[48:49]
	v_add_f64 v[92:93], v[44:45], -v[31:32]
	v_fma_f64 v[13:14], v[13:14], v[68:69], -v[52:53]
	v_add_f64 v[48:49], v[44:45], v[46:47]
	v_fma_f64 v[23:24], v[23:24], v[72:73], v[54:55]
	v_add_f64 v[54:55], v[31:32], v[50:51]
	v_fma_f64 v[15:16], v[29:30], v[60:61], -v[15:16]
	v_fma_f64 v[29:30], v[80:81], v[64:65], -v[62:63]
	v_add_f64 v[62:63], v[17:18], -v[21:22]
	v_fma_f64 v[52:53], v[84:85], v[72:73], -v[56:57]
	v_add_f64 v[56:57], v[17:18], v[21:22]
	v_add_f64 v[70:71], v[76:77], -v[25:26]
	v_add_f64 v[74:75], v[44:45], -v[46:47]
	;; [unrolled: 1-line block ×5, first 2 shown]
	v_fma_f64 v[6:7], v[6:7], v[68:69], v[58:59]
	v_add_f64 v[58:59], v[76:77], v[25:26]
	v_add_f64 v[60:61], v[78:79], v[19:20]
	v_fma_f64 v[48:49], v[48:49], -0.5, v[13:14]
	v_add_f64 v[64:65], v[37:38], v[23:24]
	v_fma_f64 v[54:55], v[54:55], -0.5, v[13:14]
	v_add_f64 v[13:14], v[13:14], v[44:45]
	v_add_f64 v[66:67], v[15:16], v[29:30]
	v_add_f64 v[44:45], v[21:22], -v[25:26]
	v_add_f64 v[68:69], v[27:28], v[52:53]
	v_add_f64 v[82:83], v[82:83], v[84:85]
	;; [unrolled: 1-line block ×3, first 2 shown]
	v_add_f64 v[88:89], v[27:28], -v[52:53]
	v_add_f64 v[72:73], v[6:7], v[76:77]
	v_fma_f64 v[56:57], v[56:57], -0.5, v[6:7]
	v_fma_f64 v[6:7], v[58:59], -0.5, v[6:7]
	v_add_f64 v[58:59], v[4:5], v[37:38]
	v_add_f64 v[76:77], v[17:18], -v[76:77]
	v_fma_f64 v[60:61], v[60:61], -0.5, v[4:5]
	v_fma_f64 v[90:91], v[62:63], s[6:7], v[48:49]
	v_fma_f64 v[48:49], v[62:63], s[2:3], v[48:49]
	v_fma_f64 v[4:5], v[64:65], -0.5, v[4:5]
	v_add_f64 v[64:65], v[11:12], v[27:28]
	v_fma_f64 v[66:67], v[66:67], -0.5, v[11:12]
	v_fma_f64 v[94:95], v[70:71], s[2:3], v[54:55]
	v_fma_f64 v[11:12], v[68:69], -0.5, v[11:12]
	v_add_f64 v[68:69], v[46:47], -v[50:51]
	v_fma_f64 v[54:55], v[70:71], s[6:7], v[54:55]
	v_add_f64 v[13:14], v[13:14], v[31:32]
	v_add_f64 v[17:18], v[72:73], v[17:18]
	v_fma_f64 v[72:73], v[74:75], s[6:7], v[56:57]
	v_fma_f64 v[56:57], v[74:75], s[2:3], v[56:57]
	;; [unrolled: 1-line block ×4, first 2 shown]
	v_add_f64 v[44:45], v[76:77], v[44:45]
	v_add_f64 v[76:77], v[78:79], -v[37:38]
	v_add_f64 v[58:59], v[58:59], v[78:79]
	v_fma_f64 v[90:91], v[70:71], s[10:11], v[90:91]
	v_fma_f64 v[48:49], v[70:71], s[12:13], v[48:49]
	v_add_f64 v[70:71], v[15:16], -v[29:30]
	v_add_f64 v[68:69], v[92:93], v[68:69]
	v_fma_f64 v[92:93], v[62:63], s[10:11], v[94:95]
	v_add_f64 v[94:95], v[37:38], -v[78:79]
	v_fma_f64 v[54:55], v[62:63], s[12:13], v[54:55]
	v_add_f64 v[62:63], v[23:24], -v[19:20]
	v_add_f64 v[37:38], v[37:38], -v[23:24]
	;; [unrolled: 1-line block ×3, first 2 shown]
	v_add_f64 v[17:18], v[17:18], v[21:22]
	v_fma_f64 v[72:73], v[80:81], s[12:13], v[72:73]
	v_fma_f64 v[56:57], v[80:81], s[10:11], v[56:57]
	v_add_f64 v[80:81], v[19:20], -v[23:24]
	v_fma_f64 v[86:87], v[74:75], s[12:13], v[86:87]
	v_fma_f64 v[6:7], v[74:75], s[10:11], v[6:7]
	;; [unrolled: 1-line block ×4, first 2 shown]
	v_add_f64 v[19:20], v[58:59], v[19:20]
	v_add_f64 v[13:14], v[13:14], v[50:51]
	v_fma_f64 v[90:91], v[84:85], s[14:15], v[90:91]
	v_fma_f64 v[48:49], v[84:85], s[14:15], v[48:49]
	;; [unrolled: 1-line block ×6, first 2 shown]
	v_add_f64 v[68:69], v[27:28], -v[15:16]
	v_add_f64 v[62:63], v[94:95], v[62:63]
	v_add_f64 v[94:95], v[52:53], -v[29:30]
	v_add_f64 v[27:28], v[15:16], -v[27:28]
	v_add_f64 v[15:16], v[64:65], v[15:16]
	v_fma_f64 v[31:32], v[37:38], s[2:3], v[66:67]
	v_add_f64 v[76:77], v[76:77], v[80:81]
	v_add_f64 v[80:81], v[29:30], -v[52:53]
	v_fma_f64 v[64:65], v[37:38], s[6:7], v[66:67]
	v_fma_f64 v[66:67], v[78:79], s[6:7], v[11:12]
	;; [unrolled: 1-line block ×9, first 2 shown]
	v_add_f64 v[19:20], v[19:20], v[23:24]
	v_add_f64 v[17:18], v[17:18], v[25:26]
	;; [unrolled: 1-line block ×3, first 2 shown]
	v_mul_f64 v[74:75], v[90:91], s[6:7]
	v_mul_f64 v[82:83], v[48:49], s[6:7]
	v_fma_f64 v[60:61], v[88:89], s[12:13], v[84:85]
	v_fma_f64 v[4:5], v[88:89], s[10:11], v[4:5]
	v_mul_f64 v[48:49], v[48:49], s[0:1]
	v_mul_f64 v[44:45], v[92:93], s[12:13]
	;; [unrolled: 1-line block ×4, first 2 shown]
	v_add_f64 v[68:69], v[68:69], v[94:95]
	v_add_f64 v[15:16], v[15:16], v[29:30]
	v_fma_f64 v[29:30], v[78:79], s[10:11], v[31:32]
	v_add_f64 v[27:28], v[27:28], v[80:81]
	v_fma_f64 v[31:32], v[78:79], s[12:13], v[64:65]
	v_fma_f64 v[50:51], v[37:38], s[10:11], v[66:67]
	;; [unrolled: 1-line block ×3, first 2 shown]
	v_mul_f64 v[37:38], v[92:93], s[16:17]
	v_mul_f64 v[64:65], v[90:91], s[14:15]
	v_fma_f64 v[21:22], v[62:63], s[14:15], v[21:22]
	v_fma_f64 v[23:24], v[62:63], s[14:15], v[58:59]
	;; [unrolled: 1-line block ×10, first 2 shown]
	v_add_f64 v[15:16], v[15:16], v[52:53]
	v_fma_f64 v[29:30], v[68:69], s[14:15], v[29:30]
	v_fma_f64 v[31:32], v[68:69], s[14:15], v[31:32]
	;; [unrolled: 1-line block ×6, first 2 shown]
	v_add_f64 v[50:51], v[19:20], v[17:18]
	v_add_f64 v[17:18], v[19:20], -v[17:18]
	v_add_f64 v[52:53], v[25:26], v[58:59]
	v_add_f64 v[25:26], v[25:26], -v[58:59]
	;; [unrolled: 2-line block ×7, first 2 shown]
	v_add_f64 v[62:63], v[11:12], v[6:7]
	v_add_f64 v[15:16], v[29:30], v[27:28]
	;; [unrolled: 1-line block ×3, first 2 shown]
	v_add_f64 v[27:28], v[29:30], -v[27:28]
	v_add_f64 v[29:30], v[46:47], -v[37:38]
	;; [unrolled: 1-line block ×3, first 2 shown]
	v_and_b32_e32 v6, 0xffff, v9
	v_and_b32_e32 v7, 0xff, v10
	s_delay_alu instid0(VALU_DEP_2) | instskip(NEXT) | instid1(VALU_DEP_2)
	v_mul_u32_u24_e32 v6, 0x190, v6
	v_mul_u32_u24_e32 v9, 9, v7
	v_lshlrev_b32_e32 v7, 3, v7
	s_delay_alu instid0(VALU_DEP_3) | instskip(NEXT) | instid1(VALU_DEP_3)
	v_add3_u32 v33, 0, v6, v3
	v_lshlrev_b32_e32 v39, 4, v9
	ds_store_2addr_b64 v33, v[50:51], v[19:20] offset1:5
	ds_store_2addr_b64 v33, v[52:53], v[54:55] offset0:10 offset1:15
	ds_store_2addr_b64 v33, v[56:57], v[17:18] offset0:20 offset1:25
	;; [unrolled: 1-line block ×4, first 2 shown]
	s_waitcnt lgkmcnt(0)
	s_barrier
	buffer_gl0_inv
	ds_load_2addr_b64 v[3:6], v36 offset1:150
	ds_load_2addr_b64 v[9:12], v0 offset0:44 offset1:194
	ds_load_2addr_b64 v[44:47], v2 offset0:88 offset1:238
	;; [unrolled: 1-line block ×4, first 2 shown]
	s_waitcnt lgkmcnt(0)
	s_barrier
	buffer_gl0_inv
	ds_store_2addr_b64 v33, v[58:59], v[15:16] offset1:5
	ds_store_2addr_b64 v33, v[60:61], v[62:63] offset0:10 offset1:15
	ds_store_2addr_b64 v33, v[64:65], v[13:14] offset0:20 offset1:25
	;; [unrolled: 1-line block ×4, first 2 shown]
	s_waitcnt lgkmcnt(0)
	s_barrier
	buffer_gl0_inv
	s_clause 0x8
	global_load_b128 v[20:23], v39, s[4:5] offset:720
	global_load_b128 v[26:29], v39, s[4:5] offset:752
	;; [unrolled: 1-line block ×9, first 2 shown]
	ds_load_2addr_b64 v[16:19], v36 offset1:150
	ds_load_2addr_b64 v[80:83], v0 offset0:44 offset1:194
	ds_load_2addr_b64 v[84:87], v2 offset0:88 offset1:238
	;; [unrolled: 1-line block ×3, first 2 shown]
	s_waitcnt vmcnt(8) lgkmcnt(3)
	v_mul_f64 v[13:14], v[18:19], v[22:23]
	v_mul_f64 v[22:23], v[5:6], v[22:23]
	s_waitcnt vmcnt(7) lgkmcnt(2)
	v_mul_f64 v[37:38], v[82:83], v[28:29]
	v_mul_f64 v[28:29], v[11:12], v[28:29]
	s_waitcnt vmcnt(6) lgkmcnt(1)
	v_mul_f64 v[92:93], v[86:87], v[32:33]
	v_fma_f64 v[5:6], v[5:6], v[20:21], v[13:14]
	v_fma_f64 v[24:25], v[18:19], v[20:21], -v[22:23]
	s_waitcnt vmcnt(5) lgkmcnt(0)
	v_mul_f64 v[18:19], v[90:91], v[58:59]
	v_mul_f64 v[13:14], v[46:47], v[32:33]
	;; [unrolled: 1-line block ×3, first 2 shown]
	v_fma_f64 v[32:33], v[11:12], v[26:27], v[37:38]
	v_fma_f64 v[26:27], v[82:83], v[26:27], -v[28:29]
	s_waitcnt vmcnt(3)
	v_mul_f64 v[28:29], v[80:81], v[66:67]
	v_fma_f64 v[58:59], v[46:47], v[30:31], v[92:93]
	s_waitcnt vmcnt(0)
	v_mul_f64 v[46:47], v[88:89], v[78:79]
	v_fma_f64 v[50:51], v[50:51], v[56:57], v[18:19]
	v_mul_f64 v[18:19], v[54:55], v[62:63]
	v_fma_f64 v[22:23], v[86:87], v[30:31], -v[13:14]
	ds_load_2addr_b64 v[11:14], v1 offset0:48 offset1:198
	v_fma_f64 v[20:21], v[90:91], v[56:57], -v[20:21]
	v_fma_f64 v[30:31], v[9:10], v[64:65], v[28:29]
	v_mul_f64 v[9:10], v[9:10], v[66:67]
	v_fma_f64 v[46:47], v[48:49], v[76:77], v[46:47]
	v_mul_f64 v[48:49], v[48:49], v[78:79]
	s_waitcnt lgkmcnt(0)
	s_barrier
	buffer_gl0_inv
	v_mul_f64 v[1:2], v[13:14], v[62:63]
	v_mul_f64 v[37:38], v[11:12], v[74:75]
	v_add_f64 v[62:63], v[58:59], -v[50:51]
	v_fma_f64 v[18:19], v[13:14], v[60:61], -v[18:19]
	v_mul_f64 v[13:14], v[84:85], v[70:71]
	v_fma_f64 v[48:49], v[88:89], v[76:77], -v[48:49]
	v_add_f64 v[88:89], v[32:33], -v[58:59]
	v_fma_f64 v[1:2], v[54:55], v[60:61], v[1:2]
	v_fma_f64 v[54:55], v[52:53], v[72:73], v[37:38]
	v_mul_f64 v[37:38], v[52:53], v[74:75]
	v_add_f64 v[52:53], v[22:23], v[20:21]
	v_add_f64 v[74:75], v[22:23], -v[26:27]
	v_add_f64 v[56:57], v[26:27], v[18:19]
	v_fma_f64 v[28:29], v[44:45], v[68:69], v[13:14]
	v_mul_f64 v[13:14], v[44:45], v[70:71]
	v_fma_f64 v[44:45], v[80:81], v[64:65], -v[9:10]
	v_add_f64 v[9:10], v[58:59], v[50:51]
	v_add_f64 v[70:71], v[26:27], -v[22:23]
	v_add_f64 v[78:79], v[20:21], -v[18:19]
	;; [unrolled: 1-line block ×4, first 2 shown]
	v_add_f64 v[60:61], v[32:33], v[1:2]
	v_fma_f64 v[38:39], v[11:12], v[72:73], -v[37:38]
	v_fma_f64 v[66:67], v[52:53], -0.5, v[24:25]
	v_add_f64 v[72:73], v[18:19], -v[20:21]
	v_add_f64 v[90:91], v[50:51], -v[1:2]
	v_fma_f64 v[56:57], v[56:57], -0.5, v[24:25]
	v_add_f64 v[11:12], v[28:29], v[46:47]
	v_fma_f64 v[52:53], v[84:85], v[68:69], -v[13:14]
	v_add_f64 v[13:14], v[30:31], v[54:55]
	v_add_f64 v[68:69], v[26:27], -v[18:19]
	v_fma_f64 v[9:10], v[9:10], -0.5, v[5:6]
	v_add_f64 v[84:85], v[3:4], v[30:31]
	v_add_f64 v[74:75], v[74:75], v[78:79]
	v_add_f64 v[92:93], v[30:31], -v[28:29]
	v_fma_f64 v[60:61], v[60:61], -0.5, v[5:6]
	v_add_f64 v[86:87], v[44:45], -v[38:39]
	v_fma_f64 v[76:77], v[64:65], s[2:3], v[66:67]
	v_fma_f64 v[66:67], v[64:65], s[6:7], v[66:67]
	v_add_f64 v[5:6], v[5:6], v[32:33]
	v_add_f64 v[72:73], v[70:71], v[72:73]
	v_add_f64 v[32:33], v[58:59], -v[32:33]
	v_fma_f64 v[82:83], v[62:63], s[6:7], v[56:57]
	v_fma_f64 v[56:57], v[62:63], s[2:3], v[56:57]
	v_fma_f64 v[11:12], v[11:12], -0.5, v[3:4]
	v_fma_f64 v[3:4], v[13:14], -0.5, v[3:4]
	v_add_f64 v[13:14], v[1:2], -v[50:51]
	v_fma_f64 v[70:71], v[68:69], s[6:7], v[9:10]
	v_fma_f64 v[9:10], v[68:69], s[2:3], v[9:10]
	v_add_f64 v[84:85], v[84:85], v[28:29]
	v_fma_f64 v[78:79], v[80:81], s[2:3], v[60:61]
	v_fma_f64 v[60:61], v[80:81], s[6:7], v[60:61]
	;; [unrolled: 1-line block ×4, first 2 shown]
	v_add_f64 v[5:6], v[5:6], v[58:59]
	v_add_f64 v[58:59], v[54:55], -v[46:47]
	v_add_f64 v[32:33], v[32:33], v[90:91]
	v_add_f64 v[90:91], v[46:47], -v[54:55]
	v_fma_f64 v[82:83], v[64:65], s[10:11], v[82:83]
	v_fma_f64 v[56:57], v[64:65], s[12:13], v[56:57]
	v_add_f64 v[64:65], v[52:53], -v[48:49]
	v_add_f64 v[13:14], v[88:89], v[13:14]
	v_fma_f64 v[94:95], v[80:81], s[12:13], v[70:71]
	v_fma_f64 v[9:10], v[80:81], s[10:11], v[9:10]
	v_fma_f64 v[80:81], v[86:87], s[6:7], v[11:12]
	v_add_f64 v[88:89], v[28:29], -v[30:31]
	v_fma_f64 v[11:12], v[86:87], s[2:3], v[11:12]
	v_fma_f64 v[78:79], v[68:69], s[12:13], v[78:79]
	;; [unrolled: 1-line block ×5, first 2 shown]
	v_add_f64 v[76:77], v[84:85], v[46:47]
	v_add_f64 v[72:73], v[92:93], v[58:59]
	;; [unrolled: 1-line block ×3, first 2 shown]
	v_fma_f64 v[68:69], v[74:75], s[14:15], v[82:83]
	v_fma_f64 v[66:67], v[74:75], s[14:15], v[56:57]
	;; [unrolled: 1-line block ×7, first 2 shown]
	v_add_f64 v[74:75], v[88:89], v[90:91]
	v_fma_f64 v[11:12], v[64:65], s[10:11], v[11:12]
	v_fma_f64 v[62:63], v[32:33], s[14:15], v[78:79]
	v_fma_f64 v[64:65], v[32:33], s[14:15], v[96:97]
	v_mul_f64 v[9:10], v[70:71], s[12:13]
	v_mul_f64 v[78:79], v[60:61], s[12:13]
	v_add_f64 v[76:77], v[76:77], v[54:55]
	v_add_f64 v[1:2], v[5:6], v[1:2]
	v_mul_f64 v[13:14], v[68:69], s[6:7]
	v_mul_f64 v[32:33], v[66:67], s[6:7]
	v_fma_f64 v[80:81], v[86:87], s[12:13], v[98:99]
	v_fma_f64 v[3:4], v[86:87], s[10:11], v[3:4]
	;; [unrolled: 1-line block ×10, first 2 shown]
	v_add_f64 v[74:75], v[76:77], v[1:2]
	v_add_f64 v[1:2], v[76:77], -v[1:2]
	v_cmp_gt_u32_e64 s0, 50, v40
	v_add_f64 v[76:77], v[5:6], v[9:10]
	v_add_f64 v[82:83], v[11:12], v[72:73]
	v_add_f64 v[5:6], v[5:6], -v[9:10]
	v_add_f64 v[78:79], v[50:51], v[13:14]
	v_add_f64 v[80:81], v[3:4], v[32:33]
	v_add_f64 v[9:10], v[50:51], -v[13:14]
	v_add_f64 v[3:4], v[3:4], -v[32:33]
	;; [unrolled: 1-line block ×3, first 2 shown]
	v_and_b32_e32 v11, 0xffff, v41
	v_add_nc_u32_e32 v72, v34, v35
                                        ; implicit-def: $vgpr34_vgpr35
	s_delay_alu instid0(VALU_DEP_2) | instskip(NEXT) | instid1(VALU_DEP_1)
	v_mul_u32_u24_e32 v11, 0xfa0, v11
	v_add3_u32 v41, 0, v11, v7
	v_add_nc_u32_e32 v11, 0x1400, v36
	s_delay_alu instid0(VALU_DEP_2)
	v_add_nc_u32_e32 v73, 0x800, v41
	ds_store_2addr_b64 v41, v[74:75], v[76:77] offset1:50
	ds_store_2addr_b64 v41, v[78:79], v[80:81] offset0:100 offset1:150
	ds_store_2addr_b64 v41, v[82:83], v[1:2] offset0:200 offset1:250
	;; [unrolled: 1-line block ×4, first 2 shown]
	s_waitcnt lgkmcnt(0)
	s_barrier
	buffer_gl0_inv
	ds_load_2addr_b64 v[4:7], v36 offset1:150
	ds_load_2addr_b64 v[0:3], v0 offset0:44 offset1:244
	ds_load_2addr_b64 v[12:15], v8 offset0:104 offset1:254
	;; [unrolled: 1-line block ×3, first 2 shown]
	ds_load_b64 v[50:51], v36 offset:10400
                                        ; implicit-def: $vgpr36_vgpr37
	s_and_saveexec_b32 s1, s0
	s_cbranch_execz .LBB0_13
; %bb.12:
	ds_load_b64 v[32:33], v72 offset:3600
	ds_load_b64 v[36:37], v72 offset:7600
	;; [unrolled: 1-line block ×3, first 2 shown]
.LBB0_13:
	s_or_b32 exec_lo, exec_lo, s1
	v_add_f64 v[74:75], v[52:53], v[48:49]
	v_add_f64 v[76:77], v[44:45], v[38:39]
	;; [unrolled: 1-line block ×3, first 2 shown]
	v_add_f64 v[30:31], v[30:31], -v[54:55]
	v_add_f64 v[24:25], v[24:25], v[26:27]
	v_add_f64 v[26:27], v[28:29], -v[46:47]
	v_add_f64 v[46:47], v[44:45], -v[52:53]
	;; [unrolled: 1-line block ×4, first 2 shown]
	v_mul_f64 v[70:71], v[70:71], s[16:17]
	v_mul_f64 v[68:69], v[68:69], s[14:15]
	;; [unrolled: 1-line block ×4, first 2 shown]
	s_waitcnt lgkmcnt(0)
	s_barrier
	buffer_gl0_inv
	v_fma_f64 v[28:29], v[74:75], -0.5, v[16:17]
	v_fma_f64 v[16:17], v[76:77], -0.5, v[16:17]
	v_add_f64 v[52:53], v[78:79], v[52:53]
	v_add_f64 v[22:23], v[24:25], v[22:23]
	v_add_f64 v[24:25], v[48:49], -v[38:39]
	v_add_f64 v[46:47], v[46:47], v[54:55]
	v_fma_f64 v[74:75], v[30:31], s[2:3], v[28:29]
	v_fma_f64 v[76:77], v[26:27], s[6:7], v[16:17]
	v_fma_f64 v[16:17], v[26:27], s[2:3], v[16:17]
	v_fma_f64 v[28:29], v[30:31], s[6:7], v[28:29]
	v_add_f64 v[48:49], v[52:53], v[48:49]
	v_add_f64 v[20:21], v[22:23], v[20:21]
	;; [unrolled: 1-line block ×3, first 2 shown]
	v_fma_f64 v[52:53], v[64:65], s[2:3], -v[66:67]
	v_fma_f64 v[24:25], v[26:27], s[10:11], v[74:75]
	v_fma_f64 v[44:45], v[30:31], s[10:11], v[76:77]
	;; [unrolled: 1-line block ×5, first 2 shown]
	v_add_f64 v[38:39], v[48:49], v[38:39]
	v_add_f64 v[18:19], v[20:21], v[18:19]
	v_fma_f64 v[30:31], v[62:63], s[2:3], v[68:69]
	v_fma_f64 v[20:21], v[56:57], s[10:11], -v[60:61]
	v_fma_f64 v[24:25], v[46:47], s[14:15], v[24:25]
	v_fma_f64 v[44:45], v[22:23], s[14:15], v[44:45]
	;; [unrolled: 1-line block ×4, first 2 shown]
	v_add_f64 v[26:27], v[38:39], v[18:19]
	v_add_f64 v[18:19], v[38:39], -v[18:19]
	v_add_f64 v[46:47], v[24:25], v[28:29]
	v_add_f64 v[48:49], v[44:45], v[30:31]
	;; [unrolled: 1-line block ×4, first 2 shown]
	v_add_f64 v[24:25], v[24:25], -v[28:29]
	v_add_f64 v[28:29], v[44:45], -v[30:31]
	;; [unrolled: 1-line block ×4, first 2 shown]
	v_add_nc_u32_e32 v20, 0x800, v72
	v_add_nc_u32_e32 v30, 0x1c00, v72
	;; [unrolled: 1-line block ×3, first 2 shown]
                                        ; implicit-def: $vgpr44_vgpr45
	ds_store_2addr_b64 v41, v[26:27], v[46:47] offset1:50
	ds_store_2addr_b64 v41, v[48:49], v[54:55] offset0:100 offset1:150
	ds_store_2addr_b64 v41, v[56:57], v[18:19] offset0:200 offset1:250
	;; [unrolled: 1-line block ×4, first 2 shown]
	s_waitcnt lgkmcnt(0)
	s_barrier
	buffer_gl0_inv
	ds_load_2addr_b64 v[16:19], v72 offset1:150
	ds_load_2addr_b64 v[20:23], v20 offset0:44 offset1:244
	ds_load_2addr_b64 v[24:27], v30 offset0:104 offset1:254
	;; [unrolled: 1-line block ×3, first 2 shown]
	ds_load_b64 v[52:53], v72 offset:10400
                                        ; implicit-def: $vgpr46_vgpr47
	s_and_saveexec_b32 s1, s0
	s_cbranch_execz .LBB0_15
; %bb.14:
	ds_load_b64 v[38:39], v72 offset:3600
	ds_load_b64 v[46:47], v72 offset:7600
	;; [unrolled: 1-line block ×3, first 2 shown]
.LBB0_15:
	s_or_b32 exec_lo, exec_lo, s1
	s_and_saveexec_b32 s1, vcc_lo
	s_cbranch_execz .LBB0_18
; %bb.16:
	v_dual_mov_b32 v49, 0 :: v_dual_add_nc_u32 v90, 0x12c, v40
	v_add_nc_u32_e32 v91, 0x96, v40
	s_mov_b32 s2, 0xe8584caa
	s_mov_b32 s3, 0xbfebb67a
	s_delay_alu instid0(VALU_DEP_2) | instskip(SKIP_2) | instid1(VALU_DEP_1)
	v_lshlrev_b32_e32 v48, 1, v90
	s_mov_b32 s7, 0x3febb67a
	s_mov_b32 s6, s2
	v_lshlrev_b64 v[54:55], 4, v[48:49]
	v_lshlrev_b32_e32 v48, 1, v91
	s_delay_alu instid0(VALU_DEP_1) | instskip(NEXT) | instid1(VALU_DEP_3)
	v_lshlrev_b64 v[56:57], 4, v[48:49]
	v_add_co_u32 v41, vcc_lo, s4, v54
	s_delay_alu instid0(VALU_DEP_4) | instskip(SKIP_1) | instid1(VALU_DEP_3)
	v_add_co_ci_u32_e32 v60, vcc_lo, s5, v55, vcc_lo
	v_lshlrev_b32_e32 v48, 1, v40
	v_add_co_u32 v58, vcc_lo, 0x1ef0, v41
	s_delay_alu instid0(VALU_DEP_3) | instskip(NEXT) | instid1(VALU_DEP_3)
	v_add_co_ci_u32_e32 v59, vcc_lo, 0, v60, vcc_lo
	v_lshlrev_b64 v[54:55], 4, v[48:49]
	v_add_co_u32 v48, vcc_lo, s4, v56
	v_add_co_ci_u32_e32 v61, vcc_lo, s5, v57, vcc_lo
	v_add_co_u32 v56, vcc_lo, 0x1000, v41
	v_add_co_ci_u32_e32 v57, vcc_lo, 0, v60, vcc_lo
	s_delay_alu instid0(VALU_DEP_4) | instskip(NEXT) | instid1(VALU_DEP_4)
	v_add_co_u32 v66, vcc_lo, 0x1ef0, v48
	v_add_co_ci_u32_e32 v67, vcc_lo, 0, v61, vcc_lo
	v_add_co_u32 v41, vcc_lo, s4, v54
	v_add_co_ci_u32_e32 v54, vcc_lo, s5, v55, vcc_lo
	;; [unrolled: 2-line block ×3, first 2 shown]
	s_delay_alu instid0(VALU_DEP_4) | instskip(NEXT) | instid1(VALU_DEP_4)
	v_add_co_u32 v74, vcc_lo, 0x1ef0, v41
	v_add_co_ci_u32_e32 v75, vcc_lo, 0, v54, vcc_lo
	v_add_co_u32 v70, vcc_lo, 0x1000, v41
	v_mov_b32_e32 v41, v49
	v_add_co_ci_u32_e32 v71, vcc_lo, 0, v54, vcc_lo
	s_clause 0x5
	global_load_b128 v[54:57], v[56:57], off offset:3824
	global_load_b128 v[58:61], v[58:59], off offset:16
	;; [unrolled: 1-line block ×6, first 2 shown]
	s_waitcnt vmcnt(5)
	v_mul_f64 v[78:79], v[10:11], v[56:57]
	s_waitcnt vmcnt(4)
	v_mul_f64 v[80:81], v[50:51], v[60:61]
	;; [unrolled: 2-line block ×6, first 2 shown]
	s_waitcnt lgkmcnt(3)
	v_mul_f64 v[72:73], v[22:23], v[72:73]
	s_waitcnt lgkmcnt(2)
	v_mul_f64 v[76:77], v[24:25], v[76:77]
	s_waitcnt lgkmcnt(1)
	v_mul_f64 v[64:65], v[28:29], v[64:65]
	v_mul_f64 v[68:69], v[26:27], v[68:69]
	v_mul_f64 v[56:57], v[30:31], v[56:57]
	s_waitcnt lgkmcnt(0)
	v_mul_f64 v[60:61], v[52:53], v[60:61]
	v_fma_f64 v[30:31], v[30:31], v[54:55], -v[78:79]
	v_fma_f64 v[52:53], v[52:53], v[58:59], -v[80:81]
	;; [unrolled: 1-line block ×6, first 2 shown]
	v_fma_f64 v[2:3], v[2:3], v[70:71], v[72:73]
	v_fma_f64 v[70:71], v[12:13], v[74:75], v[76:77]
	;; [unrolled: 1-line block ×6, first 2 shown]
	v_add_co_u32 v86, vcc_lo, s8, v42
	v_add_co_ci_u32_e32 v43, vcc_lo, s9, v43, vcc_lo
	v_add_f64 v[66:67], v[20:21], v[30:31]
	v_add_f64 v[50:51], v[30:31], v[52:53]
	;; [unrolled: 1-line block ×10, first 2 shown]
	v_add_f64 v[80:81], v[2:3], -v[70:71]
	v_add_f64 v[62:63], v[10:11], v[12:13]
	v_add_f64 v[64:65], v[10:11], -v[12:13]
	v_add_f64 v[10:11], v[0:1], v[10:11]
	v_add_f64 v[22:23], v[22:23], -v[24:25]
	v_add_f64 v[68:69], v[8:9], -v[14:15]
	;; [unrolled: 1-line block ×4, first 2 shown]
	v_mul_hi_u32 v2, 0x10624dd3, v91
	v_mul_hi_u32 v3, 0x10624dd3, v90
	s_delay_alu instid0(VALU_DEP_2) | instskip(NEXT) | instid1(VALU_DEP_2)
	v_lshrrev_b32_e32 v2, 5, v2
	v_lshrrev_b32_e32 v87, 5, v3
	s_delay_alu instid0(VALU_DEP_2)
	v_mul_u32_u24_e32 v48, 0x3e8, v2
	v_add_f64 v[8:9], v[66:67], v[52:53]
	v_fma_f64 v[50:51], v[50:51], -0.5, v[20:21]
	v_fma_f64 v[18:19], v[54:55], -0.5, v[18:19]
	;; [unrolled: 1-line block ×3, first 2 shown]
	v_add_f64 v[16:17], v[76:77], v[24:25]
	v_fma_f64 v[4:5], v[58:59], -0.5, v[4:5]
	v_fma_f64 v[84:85], v[60:61], -0.5, v[6:7]
	;; [unrolled: 1-line block ×3, first 2 shown]
	v_lshlrev_b64 v[0:1], 4, v[40:41]
	v_add_f64 v[6:7], v[10:11], v[12:13]
	v_add_f64 v[10:11], v[74:75], v[14:15]
	;; [unrolled: 1-line block ×4, first 2 shown]
	v_lshlrev_b64 v[41:42], 4, v[48:49]
	v_add_co_u32 v0, vcc_lo, v86, v0
	v_add_co_ci_u32_e32 v1, vcc_lo, v43, v1, vcc_lo
	v_mad_u32_u24 v48, 0x3e8, v87, v90
	s_delay_alu instid0(VALU_DEP_3) | instskip(NEXT) | instid1(VALU_DEP_3)
	v_add_co_u32 v2, vcc_lo, 0x1000, v0
	v_add_co_ci_u32_e32 v3, vcc_lo, 0, v1, vcc_lo
	v_fma_f64 v[20:21], v[64:65], s[2:3], v[50:51]
	v_fma_f64 v[24:25], v[64:65], s[6:7], v[50:51]
	;; [unrolled: 1-line block ×12, first 2 shown]
	v_add_co_u32 v4, vcc_lo, 0x3000, v0
	v_add_co_ci_u32_e32 v5, vcc_lo, 0, v1, vcc_lo
	v_add_co_u32 v30, vcc_lo, v0, v41
	v_add_co_ci_u32_e32 v31, vcc_lo, v1, v42, vcc_lo
	v_lshlrev_b64 v[41:42], 4, v[48:49]
	s_delay_alu instid0(VALU_DEP_3) | instskip(NEXT) | instid1(VALU_DEP_3)
	v_add_co_u32 v62, vcc_lo, 0x2000, v30
	v_add_co_ci_u32_e32 v63, vcc_lo, 0, v31, vcc_lo
	s_delay_alu instid0(VALU_DEP_3) | instskip(NEXT) | instid1(VALU_DEP_4)
	v_add_co_u32 v41, vcc_lo, v86, v41
	v_add_co_ci_u32_e32 v42, vcc_lo, v43, v42, vcc_lo
	v_add_co_u32 v64, vcc_lo, 0x4000, v30
	v_add_co_ci_u32_e32 v65, vcc_lo, 0, v31, vcc_lo
	s_delay_alu instid0(VALU_DEP_4) | instskip(NEXT) | instid1(VALU_DEP_4)
	v_add_co_u32 v66, vcc_lo, 0x1000, v41
	v_add_co_ci_u32_e32 v67, vcc_lo, 0, v42, vcc_lo
	v_add_co_u32 v68, vcc_lo, 0x3000, v41
	v_add_co_ci_u32_e32 v69, vcc_lo, 0, v42, vcc_lo
	s_clause 0x8
	global_store_b128 v[0:1], v[14:17], off
	global_store_b128 v[2:3], v[54:57], off offset:3904
	global_store_b128 v[4:5], v[50:53], off offset:3712
	;; [unrolled: 1-line block ×5, first 2 shown]
	global_store_b128 v[41:42], v[6:9], off
	global_store_b128 v[66:67], v[22:25], off offset:3904
	global_store_b128 v[68:69], v[18:21], off offset:3712
	s_and_b32 exec_lo, exec_lo, s0
	s_cbranch_execz .LBB0_18
; %bb.17:
	v_mov_b32_e32 v6, 0x1c2
	s_delay_alu instid0(VALU_DEP_1) | instskip(NEXT) | instid1(VALU_DEP_1)
	v_cndmask_b32_e64 v6, 0xffffffce, v6, s0
	v_add_lshl_u32 v48, v40, v6, 1
	s_delay_alu instid0(VALU_DEP_1) | instskip(NEXT) | instid1(VALU_DEP_1)
	v_lshlrev_b64 v[6:7], 4, v[48:49]
	v_add_co_u32 v8, vcc_lo, s4, v6
	s_delay_alu instid0(VALU_DEP_2) | instskip(NEXT) | instid1(VALU_DEP_2)
	v_add_co_ci_u32_e32 v9, vcc_lo, s5, v7, vcc_lo
	v_add_co_u32 v6, vcc_lo, 0x1000, v8
	s_delay_alu instid0(VALU_DEP_2)
	v_add_co_ci_u32_e32 v7, vcc_lo, 0, v9, vcc_lo
	v_add_co_u32 v10, vcc_lo, 0x1ef0, v8
	v_add_co_ci_u32_e32 v11, vcc_lo, 0, v9, vcc_lo
	v_add_co_u32 v0, vcc_lo, 0x5000, v0
	s_clause 0x1
	global_load_b128 v[6:9], v[6:7], off offset:3824
	global_load_b128 v[10:13], v[10:11], off offset:16
	v_add_co_ci_u32_e32 v1, vcc_lo, 0, v1, vcc_lo
	s_waitcnt vmcnt(1)
	v_mul_f64 v[14:15], v[46:47], v[8:9]
	s_waitcnt vmcnt(0)
	v_mul_f64 v[16:17], v[44:45], v[12:13]
	v_mul_f64 v[8:9], v[36:37], v[8:9]
	v_mul_f64 v[12:13], v[34:35], v[12:13]
	s_delay_alu instid0(VALU_DEP_4) | instskip(NEXT) | instid1(VALU_DEP_4)
	v_fma_f64 v[14:15], v[36:37], v[6:7], v[14:15]
	v_fma_f64 v[16:17], v[34:35], v[10:11], v[16:17]
	s_delay_alu instid0(VALU_DEP_4) | instskip(NEXT) | instid1(VALU_DEP_4)
	v_fma_f64 v[6:7], v[46:47], v[6:7], -v[8:9]
	v_fma_f64 v[8:9], v[44:45], v[10:11], -v[12:13]
	s_delay_alu instid0(VALU_DEP_4) | instskip(NEXT) | instid1(VALU_DEP_4)
	v_add_f64 v[18:19], v[32:33], v[14:15]
	v_add_f64 v[10:11], v[14:15], v[16:17]
	s_delay_alu instid0(VALU_DEP_4) | instskip(NEXT) | instid1(VALU_DEP_4)
	v_add_f64 v[22:23], v[38:39], v[6:7]
	v_add_f64 v[12:13], v[6:7], v[8:9]
	v_add_f64 v[20:21], v[6:7], -v[8:9]
	v_add_f64 v[26:27], v[14:15], -v[16:17]
	v_add_f64 v[6:7], v[18:19], v[16:17]
	v_fma_f64 v[24:25], v[10:11], -0.5, v[32:33]
	v_add_f64 v[8:9], v[22:23], v[8:9]
	v_fma_f64 v[28:29], v[12:13], -0.5, v[38:39]
	s_delay_alu instid0(VALU_DEP_3) | instskip(SKIP_1) | instid1(VALU_DEP_3)
	v_fma_f64 v[10:11], v[20:21], s[2:3], v[24:25]
	v_fma_f64 v[14:15], v[20:21], s[6:7], v[24:25]
	;; [unrolled: 1-line block ×4, first 2 shown]
	s_clause 0x2
	global_store_b128 v[2:3], v[6:9], off offset:3104
	global_store_b128 v[4:5], v[10:13], off offset:2912
	;; [unrolled: 1-line block ×3, first 2 shown]
.LBB0_18:
	s_nop 0
	s_sendmsg sendmsg(MSG_DEALLOC_VGPRS)
	s_endpgm
	.section	.rodata,"a",@progbits
	.p2align	6, 0x0
	.amdhsa_kernel fft_rtc_back_len1500_factors_5_10_10_3_wgs_150_tpt_150_halfLds_dp_ip_CI_unitstride_sbrr_dirReg
		.amdhsa_group_segment_fixed_size 0
		.amdhsa_private_segment_fixed_size 0
		.amdhsa_kernarg_size 88
		.amdhsa_user_sgpr_count 15
		.amdhsa_user_sgpr_dispatch_ptr 0
		.amdhsa_user_sgpr_queue_ptr 0
		.amdhsa_user_sgpr_kernarg_segment_ptr 1
		.amdhsa_user_sgpr_dispatch_id 0
		.amdhsa_user_sgpr_private_segment_size 0
		.amdhsa_wavefront_size32 1
		.amdhsa_uses_dynamic_stack 0
		.amdhsa_enable_private_segment 0
		.amdhsa_system_sgpr_workgroup_id_x 1
		.amdhsa_system_sgpr_workgroup_id_y 0
		.amdhsa_system_sgpr_workgroup_id_z 0
		.amdhsa_system_sgpr_workgroup_info 0
		.amdhsa_system_vgpr_workitem_id 0
		.amdhsa_next_free_vgpr 100
		.amdhsa_next_free_sgpr 21
		.amdhsa_reserve_vcc 1
		.amdhsa_float_round_mode_32 0
		.amdhsa_float_round_mode_16_64 0
		.amdhsa_float_denorm_mode_32 3
		.amdhsa_float_denorm_mode_16_64 3
		.amdhsa_dx10_clamp 1
		.amdhsa_ieee_mode 1
		.amdhsa_fp16_overflow 0
		.amdhsa_workgroup_processor_mode 1
		.amdhsa_memory_ordered 1
		.amdhsa_forward_progress 0
		.amdhsa_shared_vgpr_count 0
		.amdhsa_exception_fp_ieee_invalid_op 0
		.amdhsa_exception_fp_denorm_src 0
		.amdhsa_exception_fp_ieee_div_zero 0
		.amdhsa_exception_fp_ieee_overflow 0
		.amdhsa_exception_fp_ieee_underflow 0
		.amdhsa_exception_fp_ieee_inexact 0
		.amdhsa_exception_int_div_zero 0
	.end_amdhsa_kernel
	.text
.Lfunc_end0:
	.size	fft_rtc_back_len1500_factors_5_10_10_3_wgs_150_tpt_150_halfLds_dp_ip_CI_unitstride_sbrr_dirReg, .Lfunc_end0-fft_rtc_back_len1500_factors_5_10_10_3_wgs_150_tpt_150_halfLds_dp_ip_CI_unitstride_sbrr_dirReg
                                        ; -- End function
	.section	.AMDGPU.csdata,"",@progbits
; Kernel info:
; codeLenInByte = 8416
; NumSgprs: 23
; NumVgprs: 100
; ScratchSize: 0
; MemoryBound: 1
; FloatMode: 240
; IeeeMode: 1
; LDSByteSize: 0 bytes/workgroup (compile time only)
; SGPRBlocks: 2
; VGPRBlocks: 12
; NumSGPRsForWavesPerEU: 23
; NumVGPRsForWavesPerEU: 100
; Occupancy: 12
; WaveLimiterHint : 1
; COMPUTE_PGM_RSRC2:SCRATCH_EN: 0
; COMPUTE_PGM_RSRC2:USER_SGPR: 15
; COMPUTE_PGM_RSRC2:TRAP_HANDLER: 0
; COMPUTE_PGM_RSRC2:TGID_X_EN: 1
; COMPUTE_PGM_RSRC2:TGID_Y_EN: 0
; COMPUTE_PGM_RSRC2:TGID_Z_EN: 0
; COMPUTE_PGM_RSRC2:TIDIG_COMP_CNT: 0
	.text
	.p2alignl 7, 3214868480
	.fill 96, 4, 3214868480
	.type	__hip_cuid_af03db307d960494,@object ; @__hip_cuid_af03db307d960494
	.section	.bss,"aw",@nobits
	.globl	__hip_cuid_af03db307d960494
__hip_cuid_af03db307d960494:
	.byte	0                               ; 0x0
	.size	__hip_cuid_af03db307d960494, 1

	.ident	"AMD clang version 19.0.0git (https://github.com/RadeonOpenCompute/llvm-project roc-6.4.0 25133 c7fe45cf4b819c5991fe208aaa96edf142730f1d)"
	.section	".note.GNU-stack","",@progbits
	.addrsig
	.addrsig_sym __hip_cuid_af03db307d960494
	.amdgpu_metadata
---
amdhsa.kernels:
  - .args:
      - .actual_access:  read_only
        .address_space:  global
        .offset:         0
        .size:           8
        .value_kind:     global_buffer
      - .offset:         8
        .size:           8
        .value_kind:     by_value
      - .actual_access:  read_only
        .address_space:  global
        .offset:         16
        .size:           8
        .value_kind:     global_buffer
      - .actual_access:  read_only
        .address_space:  global
        .offset:         24
        .size:           8
        .value_kind:     global_buffer
      - .offset:         32
        .size:           8
        .value_kind:     by_value
      - .actual_access:  read_only
        .address_space:  global
        .offset:         40
        .size:           8
        .value_kind:     global_buffer
      - .actual_access:  read_only
        .address_space:  global
        .offset:         48
        .size:           8
        .value_kind:     global_buffer
      - .offset:         56
        .size:           4
        .value_kind:     by_value
      - .actual_access:  read_only
        .address_space:  global
        .offset:         64
        .size:           8
        .value_kind:     global_buffer
      - .actual_access:  read_only
        .address_space:  global
        .offset:         72
        .size:           8
        .value_kind:     global_buffer
      - .address_space:  global
        .offset:         80
        .size:           8
        .value_kind:     global_buffer
    .group_segment_fixed_size: 0
    .kernarg_segment_align: 8
    .kernarg_segment_size: 88
    .language:       OpenCL C
    .language_version:
      - 2
      - 0
    .max_flat_workgroup_size: 150
    .name:           fft_rtc_back_len1500_factors_5_10_10_3_wgs_150_tpt_150_halfLds_dp_ip_CI_unitstride_sbrr_dirReg
    .private_segment_fixed_size: 0
    .sgpr_count:     23
    .sgpr_spill_count: 0
    .symbol:         fft_rtc_back_len1500_factors_5_10_10_3_wgs_150_tpt_150_halfLds_dp_ip_CI_unitstride_sbrr_dirReg.kd
    .uniform_work_group_size: 1
    .uses_dynamic_stack: false
    .vgpr_count:     100
    .vgpr_spill_count: 0
    .wavefront_size: 32
    .workgroup_processor_mode: 1
amdhsa.target:   amdgcn-amd-amdhsa--gfx1100
amdhsa.version:
  - 1
  - 2
...

	.end_amdgpu_metadata
